;; amdgpu-corpus repo=ROCm/rocFFT kind=compiled arch=gfx1201 opt=O3
	.text
	.amdgcn_target "amdgcn-amd-amdhsa--gfx1201"
	.amdhsa_code_object_version 6
	.protected	fft_rtc_back_len220_factors_10_2_11_wgs_110_tpt_22_dp_ip_CI_unitstride_sbrr_R2C_dirReg ; -- Begin function fft_rtc_back_len220_factors_10_2_11_wgs_110_tpt_22_dp_ip_CI_unitstride_sbrr_R2C_dirReg
	.globl	fft_rtc_back_len220_factors_10_2_11_wgs_110_tpt_22_dp_ip_CI_unitstride_sbrr_R2C_dirReg
	.p2align	8
	.type	fft_rtc_back_len220_factors_10_2_11_wgs_110_tpt_22_dp_ip_CI_unitstride_sbrr_R2C_dirReg,@function
fft_rtc_back_len220_factors_10_2_11_wgs_110_tpt_22_dp_ip_CI_unitstride_sbrr_R2C_dirReg: ; @fft_rtc_back_len220_factors_10_2_11_wgs_110_tpt_22_dp_ip_CI_unitstride_sbrr_R2C_dirReg
; %bb.0:
	s_load_b128 s[4:7], s[0:1], 0x0
	v_mul_u32_u24_e32 v1, 0xba3, v0
	s_clause 0x1
	s_load_b64 s[8:9], s[0:1], 0x50
	s_load_b64 s[10:11], s[0:1], 0x18
	v_mov_b32_e32 v5, 0
	v_lshrrev_b32_e32 v1, 16, v1
	s_delay_alu instid0(VALU_DEP_1) | instskip(SKIP_3) | instid1(VALU_DEP_1)
	v_mad_co_u64_u32 v[1:2], null, ttmp9, 5, v[1:2]
	v_mov_b32_e32 v3, 0
	v_mov_b32_e32 v4, 0
	;; [unrolled: 1-line block ×4, first 2 shown]
	s_wait_kmcnt 0x0
	v_cmp_lt_u64_e64 s2, s[6:7], 2
	v_mov_b32_e32 v9, v1
	s_delay_alu instid0(VALU_DEP_2)
	s_and_b32 vcc_lo, exec_lo, s2
	s_cbranch_vccnz .LBB0_8
; %bb.1:
	s_load_b64 s[2:3], s[0:1], 0x10
	v_dual_mov_b32 v3, 0 :: v_dual_mov_b32 v8, v2
	v_dual_mov_b32 v4, 0 :: v_dual_mov_b32 v7, v1
	s_add_nc_u64 s[12:13], s[10:11], 8
	s_mov_b64 s[14:15], 1
	s_wait_kmcnt 0x0
	s_add_nc_u64 s[16:17], s[2:3], 8
	s_mov_b32 s3, 0
.LBB0_2:                                ; =>This Inner Loop Header: Depth=1
	s_load_b64 s[18:19], s[16:17], 0x0
                                        ; implicit-def: $vgpr9_vgpr10
	s_mov_b32 s2, exec_lo
	s_wait_kmcnt 0x0
	v_or_b32_e32 v6, s19, v8
	s_delay_alu instid0(VALU_DEP_1)
	v_cmpx_ne_u64_e32 0, v[5:6]
	s_wait_alu 0xfffe
	s_xor_b32 s20, exec_lo, s2
	s_cbranch_execz .LBB0_4
; %bb.3:                                ;   in Loop: Header=BB0_2 Depth=1
	s_cvt_f32_u32 s2, s18
	s_cvt_f32_u32 s21, s19
	s_sub_nc_u64 s[24:25], 0, s[18:19]
	s_wait_alu 0xfffe
	s_delay_alu instid0(SALU_CYCLE_1) | instskip(SKIP_1) | instid1(SALU_CYCLE_2)
	s_fmamk_f32 s2, s21, 0x4f800000, s2
	s_wait_alu 0xfffe
	v_s_rcp_f32 s2, s2
	s_delay_alu instid0(TRANS32_DEP_1) | instskip(SKIP_1) | instid1(SALU_CYCLE_2)
	s_mul_f32 s2, s2, 0x5f7ffffc
	s_wait_alu 0xfffe
	s_mul_f32 s21, s2, 0x2f800000
	s_wait_alu 0xfffe
	s_delay_alu instid0(SALU_CYCLE_2) | instskip(SKIP_1) | instid1(SALU_CYCLE_2)
	s_trunc_f32 s21, s21
	s_wait_alu 0xfffe
	s_fmamk_f32 s2, s21, 0xcf800000, s2
	s_cvt_u32_f32 s23, s21
	s_wait_alu 0xfffe
	s_delay_alu instid0(SALU_CYCLE_1) | instskip(SKIP_1) | instid1(SALU_CYCLE_2)
	s_cvt_u32_f32 s22, s2
	s_wait_alu 0xfffe
	s_mul_u64 s[26:27], s[24:25], s[22:23]
	s_wait_alu 0xfffe
	s_mul_hi_u32 s29, s22, s27
	s_mul_i32 s28, s22, s27
	s_mul_hi_u32 s2, s22, s26
	s_mul_i32 s30, s23, s26
	s_wait_alu 0xfffe
	s_add_nc_u64 s[28:29], s[2:3], s[28:29]
	s_mul_hi_u32 s21, s23, s26
	s_mul_hi_u32 s31, s23, s27
	s_add_co_u32 s2, s28, s30
	s_wait_alu 0xfffe
	s_add_co_ci_u32 s2, s29, s21
	s_mul_i32 s26, s23, s27
	s_add_co_ci_u32 s27, s31, 0
	s_wait_alu 0xfffe
	s_add_nc_u64 s[26:27], s[2:3], s[26:27]
	s_wait_alu 0xfffe
	v_add_co_u32 v2, s2, s22, s26
	s_delay_alu instid0(VALU_DEP_1) | instskip(SKIP_1) | instid1(VALU_DEP_1)
	s_cmp_lg_u32 s2, 0
	s_add_co_ci_u32 s23, s23, s27
	v_readfirstlane_b32 s22, v2
	s_wait_alu 0xfffe
	s_delay_alu instid0(VALU_DEP_1)
	s_mul_u64 s[24:25], s[24:25], s[22:23]
	s_wait_alu 0xfffe
	s_mul_hi_u32 s27, s22, s25
	s_mul_i32 s26, s22, s25
	s_mul_hi_u32 s2, s22, s24
	s_mul_i32 s28, s23, s24
	s_wait_alu 0xfffe
	s_add_nc_u64 s[26:27], s[2:3], s[26:27]
	s_mul_hi_u32 s21, s23, s24
	s_mul_hi_u32 s22, s23, s25
	s_wait_alu 0xfffe
	s_add_co_u32 s2, s26, s28
	s_add_co_ci_u32 s2, s27, s21
	s_mul_i32 s24, s23, s25
	s_add_co_ci_u32 s25, s22, 0
	s_wait_alu 0xfffe
	s_add_nc_u64 s[24:25], s[2:3], s[24:25]
	s_wait_alu 0xfffe
	v_add_co_u32 v2, s2, v2, s24
	s_delay_alu instid0(VALU_DEP_1) | instskip(SKIP_1) | instid1(VALU_DEP_1)
	s_cmp_lg_u32 s2, 0
	s_add_co_ci_u32 s2, s23, s25
	v_mul_hi_u32 v6, v7, v2
	s_wait_alu 0xfffe
	v_mad_co_u64_u32 v[9:10], null, v7, s2, 0
	v_mad_co_u64_u32 v[11:12], null, v8, v2, 0
	;; [unrolled: 1-line block ×3, first 2 shown]
	s_delay_alu instid0(VALU_DEP_3) | instskip(SKIP_1) | instid1(VALU_DEP_4)
	v_add_co_u32 v2, vcc_lo, v6, v9
	s_wait_alu 0xfffd
	v_add_co_ci_u32_e32 v6, vcc_lo, 0, v10, vcc_lo
	s_delay_alu instid0(VALU_DEP_2) | instskip(SKIP_1) | instid1(VALU_DEP_2)
	v_add_co_u32 v2, vcc_lo, v2, v11
	s_wait_alu 0xfffd
	v_add_co_ci_u32_e32 v2, vcc_lo, v6, v12, vcc_lo
	s_wait_alu 0xfffd
	v_add_co_ci_u32_e32 v6, vcc_lo, 0, v14, vcc_lo
	s_delay_alu instid0(VALU_DEP_2) | instskip(SKIP_1) | instid1(VALU_DEP_2)
	v_add_co_u32 v2, vcc_lo, v2, v13
	s_wait_alu 0xfffd
	v_add_co_ci_u32_e32 v6, vcc_lo, 0, v6, vcc_lo
	s_delay_alu instid0(VALU_DEP_2) | instskip(SKIP_1) | instid1(VALU_DEP_3)
	v_mul_lo_u32 v11, s19, v2
	v_mad_co_u64_u32 v[9:10], null, s18, v2, 0
	v_mul_lo_u32 v12, s18, v6
	s_delay_alu instid0(VALU_DEP_2) | instskip(NEXT) | instid1(VALU_DEP_2)
	v_sub_co_u32 v9, vcc_lo, v7, v9
	v_add3_u32 v10, v10, v12, v11
	s_delay_alu instid0(VALU_DEP_1) | instskip(SKIP_1) | instid1(VALU_DEP_1)
	v_sub_nc_u32_e32 v11, v8, v10
	s_wait_alu 0xfffd
	v_subrev_co_ci_u32_e64 v11, s2, s19, v11, vcc_lo
	v_add_co_u32 v12, s2, v2, 2
	s_wait_alu 0xf1ff
	v_add_co_ci_u32_e64 v13, s2, 0, v6, s2
	v_sub_co_u32 v14, s2, v9, s18
	v_sub_co_ci_u32_e32 v10, vcc_lo, v8, v10, vcc_lo
	s_wait_alu 0xf1ff
	v_subrev_co_ci_u32_e64 v11, s2, 0, v11, s2
	s_delay_alu instid0(VALU_DEP_3) | instskip(NEXT) | instid1(VALU_DEP_3)
	v_cmp_le_u32_e32 vcc_lo, s18, v14
	v_cmp_eq_u32_e64 s2, s19, v10
	s_wait_alu 0xfffd
	v_cndmask_b32_e64 v14, 0, -1, vcc_lo
	v_cmp_le_u32_e32 vcc_lo, s19, v11
	s_wait_alu 0xfffd
	v_cndmask_b32_e64 v15, 0, -1, vcc_lo
	v_cmp_le_u32_e32 vcc_lo, s18, v9
	;; [unrolled: 3-line block ×3, first 2 shown]
	s_wait_alu 0xfffd
	v_cndmask_b32_e64 v16, 0, -1, vcc_lo
	v_cmp_eq_u32_e32 vcc_lo, s19, v11
	s_wait_alu 0xf1ff
	s_delay_alu instid0(VALU_DEP_2)
	v_cndmask_b32_e64 v9, v16, v9, s2
	s_wait_alu 0xfffd
	v_cndmask_b32_e32 v11, v15, v14, vcc_lo
	v_add_co_u32 v14, vcc_lo, v2, 1
	s_wait_alu 0xfffd
	v_add_co_ci_u32_e32 v15, vcc_lo, 0, v6, vcc_lo
	s_delay_alu instid0(VALU_DEP_3) | instskip(SKIP_1) | instid1(VALU_DEP_2)
	v_cmp_ne_u32_e32 vcc_lo, 0, v11
	s_wait_alu 0xfffd
	v_dual_cndmask_b32 v10, v15, v13 :: v_dual_cndmask_b32 v11, v14, v12
	v_cmp_ne_u32_e32 vcc_lo, 0, v9
	s_wait_alu 0xfffd
	s_delay_alu instid0(VALU_DEP_2) | instskip(NEXT) | instid1(VALU_DEP_3)
	v_cndmask_b32_e32 v10, v6, v10, vcc_lo
	v_cndmask_b32_e32 v9, v2, v11, vcc_lo
.LBB0_4:                                ;   in Loop: Header=BB0_2 Depth=1
	s_wait_alu 0xfffe
	s_and_not1_saveexec_b32 s2, s20
	s_cbranch_execz .LBB0_6
; %bb.5:                                ;   in Loop: Header=BB0_2 Depth=1
	v_cvt_f32_u32_e32 v2, s18
	s_sub_co_i32 s20, 0, s18
	s_delay_alu instid0(VALU_DEP_1) | instskip(NEXT) | instid1(TRANS32_DEP_1)
	v_rcp_iflag_f32_e32 v2, v2
	v_mul_f32_e32 v2, 0x4f7ffffe, v2
	s_delay_alu instid0(VALU_DEP_1) | instskip(SKIP_1) | instid1(VALU_DEP_1)
	v_cvt_u32_f32_e32 v2, v2
	s_wait_alu 0xfffe
	v_mul_lo_u32 v6, s20, v2
	s_delay_alu instid0(VALU_DEP_1) | instskip(NEXT) | instid1(VALU_DEP_1)
	v_mul_hi_u32 v6, v2, v6
	v_add_nc_u32_e32 v2, v2, v6
	s_delay_alu instid0(VALU_DEP_1) | instskip(NEXT) | instid1(VALU_DEP_1)
	v_mul_hi_u32 v2, v7, v2
	v_mul_lo_u32 v6, v2, s18
	v_add_nc_u32_e32 v9, 1, v2
	s_delay_alu instid0(VALU_DEP_2) | instskip(NEXT) | instid1(VALU_DEP_1)
	v_sub_nc_u32_e32 v6, v7, v6
	v_subrev_nc_u32_e32 v10, s18, v6
	v_cmp_le_u32_e32 vcc_lo, s18, v6
	s_wait_alu 0xfffd
	s_delay_alu instid0(VALU_DEP_2) | instskip(SKIP_2) | instid1(VALU_DEP_3)
	v_cndmask_b32_e32 v6, v6, v10, vcc_lo
	v_mov_b32_e32 v10, v5
	v_cndmask_b32_e32 v2, v2, v9, vcc_lo
	v_cmp_le_u32_e32 vcc_lo, s18, v6
	s_delay_alu instid0(VALU_DEP_2) | instskip(SKIP_1) | instid1(VALU_DEP_1)
	v_add_nc_u32_e32 v9, 1, v2
	s_wait_alu 0xfffd
	v_cndmask_b32_e32 v9, v2, v9, vcc_lo
.LBB0_6:                                ;   in Loop: Header=BB0_2 Depth=1
	s_wait_alu 0xfffe
	s_or_b32 exec_lo, exec_lo, s2
	s_load_b64 s[20:21], s[12:13], 0x0
	v_mul_lo_u32 v2, v10, s18
	v_mul_lo_u32 v6, v9, s19
	v_mad_co_u64_u32 v[11:12], null, v9, s18, 0
	s_add_nc_u64 s[14:15], s[14:15], 1
	s_add_nc_u64 s[12:13], s[12:13], 8
	s_wait_alu 0xfffe
	v_cmp_ge_u64_e64 s2, s[14:15], s[6:7]
	s_add_nc_u64 s[16:17], s[16:17], 8
	s_delay_alu instid0(VALU_DEP_2) | instskip(NEXT) | instid1(VALU_DEP_3)
	v_add3_u32 v2, v12, v6, v2
	v_sub_co_u32 v6, vcc_lo, v7, v11
	s_wait_alu 0xfffd
	s_delay_alu instid0(VALU_DEP_2) | instskip(SKIP_3) | instid1(VALU_DEP_2)
	v_sub_co_ci_u32_e32 v2, vcc_lo, v8, v2, vcc_lo
	s_and_b32 vcc_lo, exec_lo, s2
	s_wait_kmcnt 0x0
	v_mul_lo_u32 v7, s21, v6
	v_mul_lo_u32 v2, s20, v2
	v_mad_co_u64_u32 v[3:4], null, s20, v6, v[3:4]
	s_delay_alu instid0(VALU_DEP_1)
	v_add3_u32 v4, v7, v4, v2
	s_wait_alu 0xfffe
	s_cbranch_vccnz .LBB0_8
; %bb.7:                                ;   in Loop: Header=BB0_2 Depth=1
	v_dual_mov_b32 v7, v9 :: v_dual_mov_b32 v8, v10
	s_branch .LBB0_2
.LBB0_8:
	s_lshl_b64 s[2:3], s[6:7], 3
	v_mul_hi_u32 v2, 0xcccccccd, v1
	s_wait_alu 0xfffe
	s_add_nc_u64 s[2:3], s[10:11], s[2:3]
	v_mul_hi_u32 v5, 0xba2e8bb, v0
	s_load_b64 s[2:3], s[2:3], 0x0
	s_load_b64 s[0:1], s[0:1], 0x20
	s_delay_alu instid0(VALU_DEP_2) | instskip(NEXT) | instid1(VALU_DEP_2)
	v_lshrrev_b32_e32 v2, 2, v2
	v_mul_u32_u24_e32 v5, 22, v5
	s_delay_alu instid0(VALU_DEP_2) | instskip(NEXT) | instid1(VALU_DEP_2)
	v_lshl_add_u32 v6, v2, 2, v2
	v_sub_nc_u32_e32 v52, v0, v5
	s_delay_alu instid0(VALU_DEP_2) | instskip(NEXT) | instid1(VALU_DEP_2)
	v_sub_nc_u32_e32 v0, v1, v6
	v_add_nc_u32_e32 v54, 22, v52
	v_add_nc_u32_e32 v60, 44, v52
	;; [unrolled: 1-line block ×3, first 2 shown]
	s_wait_kmcnt 0x0
	v_mul_lo_u32 v5, s2, v10
	v_mul_lo_u32 v7, s3, v9
	v_mad_co_u64_u32 v[2:3], null, s2, v9, v[3:4]
	v_cmp_gt_u64_e32 vcc_lo, s[0:1], v[9:10]
	v_cmp_le_u64_e64 s0, s[0:1], v[9:10]
	v_add_nc_u32_e32 v58, 0x58, v52
	s_delay_alu instid0(VALU_DEP_4) | instskip(NEXT) | instid1(VALU_DEP_3)
	v_add3_u32 v3, v7, v3, v5
	s_and_saveexec_b32 s1, s0
	s_wait_alu 0xfffe
	s_xor_b32 s0, exec_lo, s1
; %bb.9:
	v_add_nc_u32_e32 v54, 22, v52
	v_add_nc_u32_e32 v60, 44, v52
	;; [unrolled: 1-line block ×4, first 2 shown]
; %bb.10:
	s_wait_alu 0xfffe
	s_or_saveexec_b32 s1, s0
	v_mul_u32_u24_e32 v0, 0xdd, v0
	v_lshlrev_b64_e32 v[56:57], 4, v[2:3]
	v_lshlrev_b32_e32 v55, 4, v52
	s_delay_alu instid0(VALU_DEP_3)
	v_lshlrev_b32_e32 v40, 4, v0
	s_wait_alu 0xfffe
	s_xor_b32 exec_lo, exec_lo, s1
	s_cbranch_execz .LBB0_12
; %bb.11:
	v_mov_b32_e32 v53, 0
	v_add_co_u32 v2, s0, s8, v56
	s_wait_alu 0xf1ff
	v_add_co_ci_u32_e64 v3, s0, s9, v57, s0
	s_delay_alu instid0(VALU_DEP_3) | instskip(SKIP_1) | instid1(VALU_DEP_2)
	v_lshlrev_b64_e32 v[0:1], 4, v[52:53]
	v_add3_u32 v41, 0, v40, v55
	v_add_co_u32 v36, s0, v2, v0
	s_wait_alu 0xf1ff
	s_delay_alu instid0(VALU_DEP_3)
	v_add_co_ci_u32_e64 v37, s0, v3, v1, s0
	s_clause 0x9
	global_load_b128 v[0:3], v[36:37], off
	global_load_b128 v[4:7], v[36:37], off offset:352
	global_load_b128 v[8:11], v[36:37], off offset:704
	;; [unrolled: 1-line block ×9, first 2 shown]
	s_wait_loadcnt 0x9
	ds_store_b128 v41, v[0:3]
	s_wait_loadcnt 0x8
	ds_store_b128 v41, v[4:7] offset:352
	s_wait_loadcnt 0x7
	ds_store_b128 v41, v[8:11] offset:704
	;; [unrolled: 2-line block ×9, first 2 shown]
.LBB0_12:
	s_or_b32 exec_lo, exec_lo, s1
	v_add3_u32 v53, 0, v55, v40
	global_wb scope:SCOPE_SE
	s_wait_dscnt 0x0
	s_barrier_signal -1
	s_barrier_wait -1
	global_inv scope:SCOPE_SE
	ds_load_b128 v[0:3], v53 offset:1056
	ds_load_b128 v[4:7], v53 offset:1760
	;; [unrolled: 1-line block ×6, first 2 shown]
	s_mov_b32 s6, 0x134454ff
	s_mov_b32 s7, 0xbfee6f0e
	;; [unrolled: 1-line block ×3, first 2 shown]
	s_wait_alu 0xfffe
	s_mov_b32 s0, s6
	v_add_nc_u32_e32 v70, 0, v40
	s_mov_b32 s12, 0x4755a5e
	s_mov_b32 s13, 0xbfe2cf23
	;; [unrolled: 1-line block ×4, first 2 shown]
	v_add_nc_u32_e32 v69, v70, v55
	s_mov_b32 s10, 0x372fe950
	s_mov_b32 s11, 0x3fd3c6ef
	;; [unrolled: 1-line block ×6, first 2 shown]
	s_wait_dscnt 0x4
	v_add_f64_e64 v[73:74], v[0:1], -v[4:5]
	s_wait_dscnt 0x3
	v_add_f64_e32 v[24:25], v[6:7], v[10:11]
	s_wait_dscnt 0x2
	v_add_f64_e32 v[26:27], v[2:3], v[14:15]
	v_add_f64_e32 v[28:29], v[4:5], v[8:9]
	;; [unrolled: 1-line block ×3, first 2 shown]
	v_add_f64_e64 v[41:42], v[0:1], -v[12:13]
	v_add_f64_e64 v[43:44], v[4:5], -v[8:9]
	;; [unrolled: 1-line block ×10, first 2 shown]
	s_wait_dscnt 0x1
	v_add_f64_e32 v[0:1], v[16:17], v[0:1]
	v_add_f64_e32 v[2:3], v[18:19], v[2:3]
	v_add_f64_e64 v[103:104], v[8:9], -v[12:13]
	s_mov_b32 s19, 0xbfe9e377
	s_wait_alu 0xfffe
	s_mov_b32 s18, s14
	v_fma_f64 v[45:46], v[24:25], -0.5, v[18:19]
	v_fma_f64 v[47:48], v[26:27], -0.5, v[18:19]
	;; [unrolled: 1-line block ×3, first 2 shown]
	ds_load_b128 v[24:27], v53 offset:2112
	ds_load_b128 v[28:31], v53 offset:2816
	;; [unrolled: 1-line block ×3, first 2 shown]
	v_fma_f64 v[87:88], v[36:37], -0.5, v[16:17]
	ds_load_b128 v[36:39], v69
	global_wb scope:SCOPE_SE
	s_wait_dscnt 0x0
	s_barrier_signal -1
	s_barrier_wait -1
	global_inv scope:SCOPE_SE
	v_add_f64_e32 v[0:1], v[0:1], v[4:5]
	v_add_f64_e32 v[2:3], v[2:3], v[6:7]
	;; [unrolled: 1-line block ×8, first 2 shown]
	v_add_f64_e64 v[95:96], v[34:35], -v[30:31]
	v_add_f64_e64 v[97:98], v[22:23], -v[26:27]
	v_add_f64_e64 v[99:100], v[32:33], -v[28:29]
	v_add_f64_e64 v[18:19], v[20:21], -v[24:25]
	v_fma_f64 v[89:90], v[41:42], s[0:1], v[45:46]
	v_fma_f64 v[91:92], v[43:44], s[6:7], v[47:48]
	;; [unrolled: 1-line block ×6, first 2 shown]
	v_add_f64_e32 v[0:1], v[0:1], v[8:9]
	v_add_f64_e32 v[2:3], v[2:3], v[10:11]
	v_fma_f64 v[16:17], v[63:64], -0.5, v[36:37]
	v_fma_f64 v[36:37], v[65:66], -0.5, v[36:37]
	;; [unrolled: 1-line block ×4, first 2 shown]
	v_add_f64_e32 v[65:66], v[73:74], v[79:80]
	v_add_f64_e32 v[67:68], v[75:76], v[81:82]
	;; [unrolled: 1-line block ×3, first 2 shown]
	v_fma_f64 v[73:74], v[85:86], s[0:1], v[87:88]
	v_fma_f64 v[75:76], v[85:86], s[6:7], v[87:88]
	v_add_f64_e64 v[83:84], v[34:35], -v[22:23]
	v_add_f64_e64 v[34:35], v[22:23], -v[34:35]
	v_add_f64_e32 v[22:23], v[107:108], v[22:23]
	v_add_f64_e64 v[81:82], v[28:29], -v[24:25]
	v_add_f64_e64 v[87:88], v[24:25], -v[28:29]
	v_fma_f64 v[77:78], v[43:44], s[2:3], v[89:90]
	v_fma_f64 v[79:80], v[41:42], s[2:3], v[91:92]
	;; [unrolled: 1-line block ×5, first 2 shown]
	v_add_f64_e64 v[47:48], v[32:33], -v[20:21]
	v_add_f64_e64 v[32:33], v[20:21], -v[32:33]
	v_add_f64_e32 v[20:21], v[105:106], v[20:21]
	v_add_f64_e64 v[89:90], v[30:31], -v[26:27]
	v_add_f64_e64 v[91:92], v[26:27], -v[30:31]
	v_add_f64_e32 v[93:94], v[101:102], v[103:104]
	v_fma_f64 v[61:62], v[85:86], s[2:3], v[61:62]
	v_add_f64_e32 v[12:13], v[0:1], v[12:13]
	v_add_f64_e32 v[14:15], v[2:3], v[14:15]
	v_and_b32_e32 v0, 0xff, v52
	v_and_b32_e32 v1, 0xff, v54
	;; [unrolled: 1-line block ×4, first 2 shown]
	s_delay_alu instid0(VALU_DEP_4)
	v_mul_lo_u16 v51, 0xcd, v0
	v_fma_f64 v[4:5], v[95:96], s[6:7], v[16:17]
	v_fma_f64 v[6:7], v[95:96], s[0:1], v[16:17]
	v_fma_f64 v[16:17], v[97:98], s[0:1], v[36:37]
	v_fma_f64 v[36:37], v[97:98], s[6:7], v[36:37]
	v_fma_f64 v[101:102], v[99:100], s[0:1], v[63:64]
	v_fma_f64 v[63:64], v[99:100], s[6:7], v[63:64]
	v_fma_f64 v[103:104], v[18:19], s[6:7], v[38:39]
	v_fma_f64 v[38:39], v[18:19], s[0:1], v[38:39]
	v_fma_f64 v[73:74], v[49:50], s[12:13], v[73:74]
	v_fma_f64 v[49:50], v[49:50], s[2:3], v[75:76]
	v_lshrrev_b16 v51, 11, v51
	v_add_f64_e32 v[22:23], v[22:23], v[26:27]
	v_fma_f64 v[75:76], v[67:68], s[10:11], v[77:78]
	v_fma_f64 v[77:78], v[71:72], s[10:11], v[79:80]
	;; [unrolled: 1-line block ×5, first 2 shown]
	v_add_f64_e32 v[47:48], v[47:48], v[81:82]
	v_add_f64_e32 v[32:33], v[32:33], v[87:88]
	;; [unrolled: 1-line block ×5, first 2 shown]
	v_fma_f64 v[4:5], v[97:98], s[12:13], v[4:5]
	v_fma_f64 v[6:7], v[97:98], s[2:3], v[6:7]
	;; [unrolled: 1-line block ×11, first 2 shown]
	v_add_f64_e32 v[22:23], v[22:23], v[30:31]
	v_mul_f64_e32 v[61:62], s[12:13], v[75:76]
	v_mul_f64_e32 v[63:64], s[6:7], v[77:78]
	;; [unrolled: 1-line block ×7, first 2 shown]
	s_wait_alu 0xfffe
	v_mul_f64_e32 v[43:44], s[18:19], v[43:44]
	v_add_f64_e32 v[20:21], v[20:21], v[28:29]
	v_fma_f64 v[28:29], v[47:48], s[10:11], v[4:5]
	v_fma_f64 v[30:31], v[47:48], s[10:11], v[6:7]
	;; [unrolled: 1-line block ×8, first 2 shown]
	v_add_f64_e64 v[6:7], v[22:23], -v[14:15]
	v_fma_f64 v[24:25], v[45:46], s[14:15], v[61:62]
	v_fma_f64 v[26:27], v[38:39], s[10:11], v[63:64]
	;; [unrolled: 1-line block ×8, first 2 shown]
	v_mul_lo_u16 v65, 0xcd, v1
	v_mul_lo_u16 v66, 0xcd, v2
	;; [unrolled: 1-line block ×3, first 2 shown]
	v_add_f64_e32 v[0:1], v[20:21], v[12:13]
	v_add_f64_e32 v[2:3], v[22:23], v[14:15]
	v_add_f64_e64 v[4:5], v[20:21], -v[12:13]
	v_and_b32_e32 v49, 0xff, v58
	v_lshrrev_b16 v65, 11, v65
	v_lshrrev_b16 v66, 11, v66
	v_mad_u32_u24 v50, 0x90, v52, v53
	v_lshl_add_u32 v74, v54, 4, v70
	v_lshl_add_u32 v73, v60, 4, v70
	;; [unrolled: 1-line block ×3, first 2 shown]
	v_cmp_gt_u32_e64 s0, 20, v52
	v_add_f64_e32 v[8:9], v[28:29], v[24:25]
	v_add_f64_e32 v[12:13], v[47:48], v[26:27]
	;; [unrolled: 1-line block ×8, first 2 shown]
	v_add_f64_e64 v[24:25], v[28:29], -v[24:25]
	v_add_f64_e64 v[28:29], v[47:48], -v[26:27]
	;; [unrolled: 1-line block ×8, first 2 shown]
	v_mul_lo_u16 v41, 0xcd, v49
	v_lshrrev_b16 v67, 11, v71
	v_mul_lo_u16 v42, v65, 10
	v_mul_lo_u16 v43, v66, 10
	v_lshl_add_u32 v71, v58, 4, v70
	v_lshrrev_b16 v68, 11, v41
	v_mul_lo_u16 v41, v51, 10
	v_mul_lo_u16 v44, v67, 10
	v_sub_nc_u16 v42, v54, v42
	v_sub_nc_u16 v43, v60, v43
	v_mul_lo_u16 v45, v68, 10
	v_sub_nc_u16 v41, v52, v41
	v_sub_nc_u16 v44, v59, v44
	v_and_b32_e32 v42, 0xff, v42
	v_and_b32_e32 v43, 0xff, v43
	v_sub_nc_u16 v45, v58, v45
	v_and_b32_e32 v41, 0xff, v41
	v_and_b32_e32 v44, 0xff, v44
	v_lshlrev_b32_e32 v76, 4, v42
	v_lshlrev_b32_e32 v77, 4, v43
	v_and_b32_e32 v45, 0xff, v45
	v_lshlrev_b32_e32 v75, 4, v41
	v_lshlrev_b32_e32 v78, 4, v44
	ds_store_b128 v50, v[0:3]
	ds_store_b128 v50, v[8:11] offset:16
	ds_store_b128 v50, v[12:15] offset:32
	;; [unrolled: 1-line block ×9, first 2 shown]
	v_lshlrev_b32_e32 v79, 4, v45
	global_wb scope:SCOPE_SE
	s_wait_dscnt 0x0
	s_barrier_signal -1
	s_barrier_wait -1
	global_inv scope:SCOPE_SE
	s_clause 0x4
	global_load_b128 v[0:3], v75, s[4:5]
	global_load_b128 v[4:7], v76, s[4:5]
	;; [unrolled: 1-line block ×5, first 2 shown]
	ds_load_b128 v[20:23], v53 offset:1760
	ds_load_b128 v[24:27], v53 offset:2112
	;; [unrolled: 1-line block ×5, first 2 shown]
	ds_load_b128 v[41:44], v69
	s_wait_loadcnt_dscnt 0x203
	v_mul_f64_e32 v[49:50], v[30:31], v[10:11]
	v_mul_f64_e32 v[45:46], v[22:23], v[2:3]
	v_mul_f64_e32 v[2:3], v[20:21], v[2:3]
	v_mul_f64_e32 v[47:48], v[26:27], v[6:7]
	v_mul_f64_e32 v[6:7], v[24:25], v[6:7]
	v_mul_f64_e32 v[10:11], v[28:29], v[10:11]
	s_wait_loadcnt_dscnt 0x102
	v_mul_f64_e32 v[61:62], v[34:35], v[14:15]
	v_mul_f64_e32 v[14:15], v[32:33], v[14:15]
	s_wait_loadcnt_dscnt 0x1
	v_mul_f64_e32 v[63:64], v[38:39], v[18:19]
	v_mul_f64_e32 v[18:19], v[36:37], v[18:19]
	v_fma_f64 v[28:29], v[28:29], v[8:9], v[49:50]
	v_fma_f64 v[45:46], v[20:21], v[0:1], v[45:46]
	v_fma_f64 v[0:1], v[22:23], v[0:1], -v[2:3]
	v_fma_f64 v[2:3], v[24:25], v[4:5], v[47:48]
	v_fma_f64 v[47:48], v[26:27], v[4:5], -v[6:7]
	v_fma_f64 v[8:9], v[30:31], v[8:9], -v[10:11]
	v_fma_f64 v[10:11], v[32:33], v[12:13], v[61:62]
	v_fma_f64 v[30:31], v[34:35], v[12:13], -v[14:15]
	v_fma_f64 v[49:50], v[36:37], v[16:17], v[63:64]
	v_fma_f64 v[61:62], v[38:39], v[16:17], -v[18:19]
	ds_load_b128 v[4:7], v74
	ds_load_b128 v[20:23], v73
	;; [unrolled: 1-line block ×4, first 2 shown]
	global_wb scope:SCOPE_SE
	s_wait_dscnt 0x0
	s_barrier_signal -1
	s_barrier_wait -1
	global_inv scope:SCOPE_SE
	v_add_f64_e64 v[16:17], v[20:21], -v[28:29]
	v_add_f64_e64 v[24:25], v[41:42], -v[45:46]
	v_add_f64_e64 v[26:27], v[43:44], -v[0:1]
	v_add_f64_e64 v[12:13], v[4:5], -v[2:3]
	v_add_f64_e64 v[14:15], v[6:7], -v[47:48]
	v_add_f64_e64 v[18:19], v[22:23], -v[8:9]
	v_add_f64_e64 v[28:29], v[32:33], -v[10:11]
	v_add_f64_e64 v[30:31], v[34:35], -v[30:31]
	v_add_f64_e64 v[8:9], v[36:37], -v[49:50]
	v_add_f64_e64 v[10:11], v[38:39], -v[61:62]
	v_and_b32_e32 v45, 0xffff, v68
	s_delay_alu instid0(VALU_DEP_1)
	v_mad_u32_u24 v45, 0x140, v45, 0
	v_fma_f64 v[20:21], v[20:21], 2.0, -v[16:17]
	v_fma_f64 v[0:1], v[41:42], 2.0, -v[24:25]
	;; [unrolled: 1-line block ×10, first 2 shown]
	v_and_b32_e32 v41, 0xffff, v51
	v_and_b32_e32 v42, 0xffff, v65
	;; [unrolled: 1-line block ×4, first 2 shown]
                                        ; implicit-def: $vgpr50_vgpr51
	s_delay_alu instid0(VALU_DEP_4) | instskip(NEXT) | instid1(VALU_DEP_4)
	v_mad_u32_u24 v41, 0x140, v41, 0
	v_mad_u32_u24 v42, 0x140, v42, 0
	s_delay_alu instid0(VALU_DEP_4) | instskip(NEXT) | instid1(VALU_DEP_4)
	v_mad_u32_u24 v43, 0x140, v43, 0
	v_mad_u32_u24 v44, 0x140, v44, 0
	s_delay_alu instid0(VALU_DEP_4) | instskip(NEXT) | instid1(VALU_DEP_4)
	v_add3_u32 v41, v41, v75, v40
	v_add3_u32 v42, v42, v76, v40
	s_delay_alu instid0(VALU_DEP_4) | instskip(NEXT) | instid1(VALU_DEP_4)
	v_add3_u32 v43, v43, v77, v40
	v_add3_u32 v44, v44, v78, v40
	;; [unrolled: 1-line block ×3, first 2 shown]
	ds_store_b128 v41, v[0:3]
	ds_store_b128 v41, v[24:27] offset:160
	ds_store_b128 v42, v[4:7]
	ds_store_b128 v42, v[12:15] offset:160
	;; [unrolled: 2-line block ×5, first 2 shown]
	global_wb scope:SCOPE_SE
	s_wait_dscnt 0x0
	s_barrier_signal -1
	s_barrier_wait -1
	global_inv scope:SCOPE_SE
	s_and_saveexec_b32 s1, s0
	s_cbranch_execz .LBB0_14
; %bb.13:
	ds_load_b128 v[0:3], v69
	ds_load_b128 v[24:27], v53 offset:320
	ds_load_b128 v[4:7], v53 offset:640
	;; [unrolled: 1-line block ×10, first 2 shown]
.LBB0_14:
	s_wait_alu 0xfffe
	s_or_b32 exec_lo, exec_lo, s1
	global_wb scope:SCOPE_SE
	s_wait_dscnt 0x0
	s_barrier_signal -1
	s_barrier_wait -1
	global_inv scope:SCOPE_SE
	s_and_saveexec_b32 s30, s0
	s_cbranch_execz .LBB0_16
; %bb.15:
	v_subrev_nc_u32_e32 v40, 20, v52
	v_mov_b32_e32 v41, 0
	s_mov_b32 s22, 0xbb3a28a1
	s_mov_b32 s16, 0xfd768dbf
	;; [unrolled: 1-line block ×3, first 2 shown]
	v_cndmask_b32_e64 v40, v40, v52, s0
	s_mov_b32 s17, 0xbfd207e7
	s_mov_b32 s18, 0x43842ef
	;; [unrolled: 1-line block ×4, first 2 shown]
	v_mul_i32_i24_e32 v40, 10, v40
	s_mov_b32 s19, 0xbfefac9e
	s_mov_b32 s20, 0xf8bb580b
	s_mov_b32 s21, 0x3fe14ced
	s_mov_b32 s25, 0xbfe14ced
	v_lshlrev_b64_e32 v[40:41], 4, v[40:41]
	s_wait_alu 0xfffe
	s_mov_b32 s24, s20
	s_mov_b32 s12, 0x7f775887
	;; [unrolled: 1-line block ×5, first 2 shown]
	v_add_co_u32 v40, s0, s4, v40
	s_wait_alu 0xf1ff
	v_add_co_ci_u32_e64 v41, s0, s5, v41, s0
	s_mov_b32 s27, 0x3fefac9e
	s_mov_b32 s29, 0x3fd207e7
	;; [unrolled: 1-line block ×3, first 2 shown]
	s_clause 0x9
	global_load_b128 v[61:64], v[40:41], off offset:160
	global_load_b128 v[75:78], v[40:41], off offset:224
	global_load_b128 v[79:82], v[40:41], off offset:208
	global_load_b128 v[83:86], v[40:41], off offset:256
	global_load_b128 v[87:90], v[40:41], off offset:304
	global_load_b128 v[91:94], v[40:41], off offset:240
	global_load_b128 v[95:98], v[40:41], off offset:192
	global_load_b128 v[99:102], v[40:41], off offset:272
	global_load_b128 v[44:47], v[40:41], off offset:176
	global_load_b128 v[40:43], v[40:41], off offset:288
	s_mov_b32 s28, s16
	s_mov_b32 s0, 0x640f44db
	s_mov_b32 s1, 0xbfc2375f
	s_mov_b32 s2, 0xd9c712b6
	s_mov_b32 s10, 0x8764f0ba
	s_mov_b32 s3, 0x3fda9628
	s_mov_b32 s11, 0x3feaeb8c
	s_wait_loadcnt 0x9
	v_mul_f64_e32 v[65:66], v[24:25], v[63:64]
	v_mul_f64_e32 v[63:64], v[26:27], v[63:64]
	s_wait_loadcnt 0x8
	v_mul_f64_e32 v[103:104], v[18:19], v[77:78]
	v_mul_f64_e32 v[77:78], v[16:17], v[77:78]
	;; [unrolled: 3-line block ×5, first 2 shown]
	s_wait_loadcnt 0x3
	v_mul_f64_e32 v[113:114], v[14:15], v[97:98]
	s_wait_loadcnt 0x2
	v_mul_f64_e32 v[115:116], v[38:39], v[101:102]
	v_mul_f64_e32 v[97:98], v[12:13], v[97:98]
	;; [unrolled: 1-line block ×3, first 2 shown]
	s_wait_loadcnt 0x1
	v_mul_f64_e32 v[117:118], v[4:5], v[46:47]
	v_mul_f64_e32 v[119:120], v[6:7], v[46:47]
	;; [unrolled: 1-line block ×4, first 2 shown]
	s_wait_loadcnt 0x0
	v_mul_f64_e32 v[121:122], v[10:11], v[42:43]
	v_mul_f64_e32 v[123:124], v[8:9], v[42:43]
	v_fma_f64 v[67:68], v[26:27], v[61:62], -v[65:66]
	v_fma_f64 v[65:66], v[24:25], v[61:62], v[63:64]
	v_fma_f64 v[42:43], v[16:17], v[75:76], v[103:104]
	v_fma_f64 v[46:47], v[18:19], v[75:76], -v[77:78]
	v_fma_f64 v[61:62], v[20:21], v[79:80], v[105:106]
	v_fma_f64 v[63:64], v[22:23], v[79:80], -v[81:82]
	;; [unrolled: 2-line block ×4, first 2 shown]
	v_fma_f64 v[28:29], v[12:13], v[95:96], v[113:114]
	v_fma_f64 v[18:19], v[36:37], v[99:100], v[115:116]
	v_fma_f64 v[30:31], v[14:15], v[95:96], -v[97:98]
	v_fma_f64 v[14:15], v[38:39], v[99:100], -v[101:102]
	;; [unrolled: 1-line block ×3, first 2 shown]
	v_fma_f64 v[34:35], v[4:5], v[44:45], v[119:120]
	v_fma_f64 v[16:17], v[48:49], v[87:88], v[109:110]
	v_fma_f64 v[12:13], v[50:51], v[87:88], -v[89:90]
	v_fma_f64 v[4:5], v[8:9], v[40:41], v[121:122]
	v_fma_f64 v[6:7], v[10:11], v[40:41], -v[123:124]
	v_add_f64_e32 v[36:37], v[2:3], v[67:68]
	v_add_f64_e32 v[38:39], v[0:1], v[65:66]
	v_add_f64_e64 v[8:9], v[61:62], -v[20:21]
	v_add_f64_e64 v[40:41], v[63:64], -v[22:23]
	;; [unrolled: 1-line block ×4, first 2 shown]
	v_add_f64_e32 v[85:86], v[63:64], v[22:23]
	v_add_f64_e64 v[50:51], v[28:29], -v[18:19]
	v_add_f64_e32 v[91:92], v[28:29], v[18:19]
	v_add_f64_e64 v[75:76], v[30:31], -v[14:15]
	v_add_f64_e32 v[87:88], v[30:31], v[14:15]
	v_add_f64_e32 v[93:94], v[61:62], v[20:21]
	v_add_f64_e64 v[10:11], v[65:66], -v[16:17]
	v_add_f64_e64 v[77:78], v[67:68], -v[12:13]
	;; [unrolled: 1-line block ×3, first 2 shown]
	v_add_f64_e32 v[67:68], v[67:68], v[12:13]
	v_add_f64_e64 v[81:82], v[32:33], -v[6:7]
	v_add_f64_e32 v[65:66], v[65:66], v[16:17]
	v_add_f64_e32 v[83:84], v[46:47], v[26:27]
	;; [unrolled: 1-line block ×7, first 2 shown]
	v_mul_f64_e32 v[95:96], s[14:15], v[8:9]
	v_mul_f64_e32 v[99:100], s[14:15], v[40:41]
	;; [unrolled: 1-line block ×8, first 2 shown]
	s_mov_b32 s15, 0xbfed1bb4
	s_wait_alu 0xfffe
	v_mul_f64_e32 v[127:128], s[24:25], v[50:51]
	v_mul_f64_e32 v[97:98], s[16:17], v[10:11]
	;; [unrolled: 1-line block ×23, first 2 shown]
	v_add_f64_e32 v[30:31], v[36:37], v[30:31]
	v_add_f64_e32 v[28:29], v[38:39], v[28:29]
	v_mul_f64_e32 v[36:37], s[24:25], v[77:78]
	v_mul_f64_e32 v[77:78], s[14:15], v[77:78]
	;; [unrolled: 1-line block ×9, first 2 shown]
	v_fma_f64 v[187:188], v[87:88], s[2:3], v[109:110]
	v_fma_f64 v[183:184], v[87:88], s[12:13], v[125:126]
	v_fma_f64 v[125:126], v[87:88], s[12:13], -v[125:126]
	v_fma_f64 v[109:110], v[87:88], s[2:3], -v[109:110]
	v_fma_f64 v[185:186], v[87:88], s[10:11], v[127:128]
	v_fma_f64 v[127:128], v[87:88], s[10:11], -v[127:128]
	v_mul_f64_e32 v[40:41], s[22:23], v[40:41]
	v_fma_f64 v[175:176], v[65:66], s[6:7], -v[115:116]
	v_fma_f64 v[115:116], v[65:66], s[6:7], v[115:116]
	v_fma_f64 v[177:178], v[65:66], s[12:13], -v[117:118]
	v_fma_f64 v[117:118], v[65:66], s[12:13], v[117:118]
	v_fma_f64 v[171:172], v[67:68], s[0:1], v[107:108]
	v_fma_f64 v[107:108], v[67:68], s[0:1], -v[107:108]
	v_fma_f64 v[179:180], v[65:66], s[0:1], -v[119:120]
	v_fma_f64 v[119:120], v[65:66], s[0:1], v[119:120]
	v_fma_f64 v[173:174], v[67:68], s[10:11], v[111:112]
	v_fma_f64 v[111:112], v[67:68], s[10:11], -v[111:112]
	;; [unrolled: 4-line block ×3, first 2 shown]
	v_fma_f64 v[191:192], v[87:88], s[0:1], v[50:51]
	v_fma_f64 v[50:51], v[87:88], s[0:1], -v[50:51]
	v_fma_f64 v[87:88], v[32:33], s[10:11], v[131:132]
	v_fma_f64 v[131:132], v[32:33], s[10:11], -v[131:132]
	;; [unrolled: 2-line block ×3, first 2 shown]
	v_add_f64_e32 v[30:31], v[30:31], v[63:64]
	v_add_f64_e32 v[28:29], v[28:29], v[61:62]
	v_mul_f64_e32 v[61:62], s[14:15], v[81:82]
	v_fma_f64 v[63:64], v[67:68], s[6:7], v[97:98]
	v_fma_f64 v[81:82], v[67:68], s[6:7], -v[97:98]
	v_fma_f64 v[97:98], v[67:68], s[12:13], v[103:104]
	v_fma_f64 v[103:104], v[67:68], s[12:13], -v[103:104]
	v_fma_f64 v[181:182], v[65:66], s[10:11], -v[36:37]
	v_fma_f64 v[36:37], v[65:66], s[10:11], v[36:37]
	v_fma_f64 v[199:200], v[65:66], s[2:3], v[77:78]
	v_fma_f64 v[65:66], v[65:66], s[2:3], -v[77:78]
	v_fma_f64 v[195:196], v[32:33], s[6:7], v[135:136]
	v_fma_f64 v[67:68], v[32:33], s[12:13], -v[137:138]
	v_fma_f64 v[77:78], v[34:35], s[10:11], -v[139:140]
	;; [unrolled: 1-line block ×3, first 2 shown]
	v_fma_f64 v[145:146], v[34:35], s[12:13], v[145:146]
	v_fma_f64 v[205:206], v[32:33], s[2:3], v[79:80]
	v_fma_f64 v[203:204], v[91:92], s[12:13], -v[147:148]
	v_fma_f64 v[147:148], v[91:92], s[12:13], v[147:148]
	v_add_f64_e32 v[115:116], v[0:1], v[115:116]
	v_mul_f64_e32 v[165:166], s[18:19], v[48:49]
	v_add_f64_e32 v[117:118], v[0:1], v[117:118]
	v_add_f64_e32 v[171:172], v[2:3], v[171:172]
	;; [unrolled: 1-line block ×3, first 2 shown]
	v_fma_f64 v[207:208], v[85:86], s[2:3], v[95:96]
	v_add_f64_e32 v[119:120], v[0:1], v[119:120]
	v_add_f64_e32 v[173:174], v[2:3], v[173:174]
	;; [unrolled: 1-line block ×3, first 2 shown]
	v_fma_f64 v[95:96], v[85:86], s[2:3], -v[95:96]
	v_fma_f64 v[209:210], v[85:86], s[6:7], v[123:124]
	v_fma_f64 v[123:124], v[85:86], s[6:7], -v[123:124]
	v_mul_f64_e32 v[38:39], s[18:19], v[44:45]
	v_mul_f64_e32 v[121:122], s[22:23], v[44:45]
	;; [unrolled: 1-line block ×7, first 2 shown]
	v_add_f64_e32 v[30:31], v[30:31], v[46:47]
	v_add_f64_e32 v[28:29], v[28:29], v[42:43]
	v_fma_f64 v[42:43], v[32:33], s[6:7], -v[135:136]
	v_fma_f64 v[46:47], v[32:33], s[12:13], v[137:138]
	v_fma_f64 v[135:136], v[34:35], s[10:11], v[139:140]
	v_fma_f64 v[137:138], v[34:35], s[0:1], -v[141:142]
	v_fma_f64 v[139:140], v[34:35], s[0:1], v[141:142]
	v_fma_f64 v[141:142], v[34:35], s[6:7], -v[143:144]
	;; [unrolled: 2-line block ×3, first 2 shown]
	v_fma_f64 v[79:80], v[34:35], s[2:3], -v[61:62]
	v_fma_f64 v[34:35], v[34:35], s[2:3], v[61:62]
	v_add_f64_e32 v[61:62], v[2:3], v[63:64]
	v_add_f64_e32 v[63:64], v[0:1], v[175:176]
	;; [unrolled: 1-line block ×13, first 2 shown]
	v_fma_f64 v[65:66], v[91:92], s[2:3], -v[113:114]
	v_fma_f64 v[113:114], v[91:92], s[2:3], v[113:114]
	v_fma_f64 v[181:182], v[91:92], s[0:1], -v[75:76]
	v_fma_f64 v[75:76], v[91:92], s[0:1], v[75:76]
	v_fma_f64 v[199:200], v[83:84], s[2:3], v[101:102]
	v_fma_f64 v[101:102], v[83:84], s[2:3], -v[101:102]
	v_add_f64_e32 v[26:27], v[30:31], v[26:27]
	v_add_f64_e32 v[24:25], v[28:29], v[24:25]
	v_fma_f64 v[30:31], v[91:92], s[10:11], v[149:150]
	v_fma_f64 v[28:29], v[91:92], s[10:11], -v[149:150]
	v_add_f64_e32 v[42:43], v[42:43], v[107:108]
	v_fma_f64 v[149:150], v[91:92], s[6:7], -v[151:152]
	v_fma_f64 v[151:152], v[91:92], s[6:7], v[151:152]
	v_fma_f64 v[91:92], v[83:84], s[0:1], v[38:39]
	v_add_f64_e32 v[107:108], v[143:144], v[119:120]
	v_add_f64_e32 v[32:33], v[32:33], v[111:112]
	;; [unrolled: 1-line block ×3, first 2 shown]
	v_fma_f64 v[111:112], v[85:86], s[12:13], v[8:9]
	v_add_f64_e32 v[61:62], v[87:88], v[61:62]
	v_add_f64_e32 v[63:64], v[77:78], v[63:64]
	;; [unrolled: 1-line block ×16, first 2 shown]
	v_fma_f64 v[46:47], v[85:86], s[0:1], v[157:158]
	v_fma_f64 v[79:80], v[85:86], s[0:1], -v[157:158]
	v_fma_f64 v[8:9], v[85:86], s[12:13], -v[8:9]
	;; [unrolled: 1-line block ×3, first 2 shown]
	v_fma_f64 v[135:136], v[93:94], s[6:7], v[159:160]
	v_fma_f64 v[137:138], v[93:94], s[10:11], -v[161:162]
	v_fma_f64 v[139:140], v[93:94], s[10:11], v[161:162]
	v_fma_f64 v[141:142], v[93:94], s[0:1], -v[163:164]
	;; [unrolled: 2-line block ×3, first 2 shown]
	v_add_f64_e32 v[22:23], v[26:27], v[22:23]
	v_add_f64_e32 v[20:21], v[24:25], v[20:21]
	v_fma_f64 v[24:25], v[85:86], s[10:11], v[155:156]
	v_fma_f64 v[26:27], v[85:86], s[10:11], -v[155:156]
	v_fma_f64 v[85:86], v[93:94], s[2:3], -v[99:100]
	v_fma_f64 v[99:100], v[93:94], s[2:3], v[99:100]
	v_fma_f64 v[40:41], v[93:94], s[12:13], v[40:41]
	v_add_f64_e32 v[42:43], v[109:110], v[42:43]
	v_fma_f64 v[38:39], v[83:84], s[0:1], -v[38:39]
	v_add_f64_e32 v[32:33], v[50:51], v[32:33]
	v_fma_f64 v[109:110], v[83:84], s[10:11], -v[153:154]
	v_add_f64_e32 v[61:62], v[183:184], v[61:62]
	v_add_f64_e32 v[63:64], v[203:204], v[63:64]
	;; [unrolled: 1-line block ×18, first 2 shown]
	v_fma_f64 v[115:116], v[89:90], s[2:3], -v[105:106]
	v_fma_f64 v[105:106], v[89:90], s[2:3], v[105:106]
	v_fma_f64 v[67:68], v[83:84], s[12:13], -v[121:122]
	v_fma_f64 v[75:76], v[83:84], s[10:11], v[153:154]
	v_fma_f64 v[113:114], v[83:84], s[6:7], v[44:45]
	v_fma_f64 v[44:45], v[83:84], s[6:7], -v[44:45]
	v_fma_f64 v[119:120], v[89:90], s[12:13], v[167:168]
	v_fma_f64 v[125:126], v[89:90], s[10:11], v[169:170]
	v_add_f64_e32 v[14:15], v[22:23], v[14:15]
	v_add_f64_e32 v[18:19], v[20:21], v[18:19]
	v_fma_f64 v[20:21], v[89:90], s[0:1], -v[165:166]
	v_fma_f64 v[22:23], v[83:84], s[12:13], v[121:122]
	v_fma_f64 v[83:84], v[89:90], s[0:1], v[165:166]
	v_fma_f64 v[127:128], v[89:90], s[6:7], -v[48:49]
	v_fma_f64 v[48:49], v[89:90], s[6:7], v[48:49]
	v_add_f64_e32 v[26:27], v[26:27], v[42:43]
	v_fma_f64 v[117:118], v[89:90], s[12:13], -v[167:168]
	v_fma_f64 v[121:122], v[89:90], s[10:11], -v[169:170]
	v_add_f64_e32 v[32:33], v[8:9], v[32:33]
	v_add_f64_e32 v[61:62], v[207:208], v[61:62]
	;; [unrolled: 1-line block ×43, first 2 shown]
	ds_store_b128 v53, v[18:21] offset:1280
	ds_store_b128 v53, v[4:7] offset:1600
	;; [unrolled: 1-line block ×9, first 2 shown]
	ds_store_b128 v69, v[42:45]
	ds_store_b128 v53, v[12:15] offset:3200
.LBB0_16:
	s_or_b32 exec_lo, exec_lo, s30
	global_wb scope:SCOPE_SE
	s_wait_dscnt 0x0
	s_barrier_signal -1
	s_barrier_wait -1
	global_inv scope:SCOPE_SE
	ds_load_b128 v[4:7], v69
	v_sub_nc_u32_e32 v12, v70, v55
	s_mov_b32 s1, exec_lo
                                        ; implicit-def: $vgpr0_vgpr1
                                        ; implicit-def: $vgpr8_vgpr9
                                        ; implicit-def: $vgpr10_vgpr11
	v_cmpx_ne_u32_e32 0, v52
	s_wait_alu 0xfffe
	s_xor_b32 s1, exec_lo, s1
	s_cbranch_execz .LBB0_18
; %bb.17:
	v_mov_b32_e32 v53, 0
                                        ; implicit-def: $vgpr70
	s_delay_alu instid0(VALU_DEP_1) | instskip(NEXT) | instid1(VALU_DEP_1)
	v_lshlrev_b64_e32 v[0:1], 4, v[52:53]
	v_add_co_u32 v0, s0, s4, v0
	s_wait_alu 0xf1ff
	s_delay_alu instid0(VALU_DEP_2)
	v_add_co_ci_u32_e64 v1, s0, s5, v1, s0
	global_load_b128 v[13:16], v[0:1], off offset:3360
	ds_load_b128 v[0:3], v12 offset:3520
	s_wait_dscnt 0x0
	v_add_f64_e64 v[8:9], v[4:5], -v[0:1]
	v_add_f64_e32 v[10:11], v[6:7], v[2:3]
	v_add_f64_e64 v[2:3], v[6:7], -v[2:3]
	v_add_f64_e32 v[0:1], v[4:5], v[0:1]
	s_delay_alu instid0(VALU_DEP_4) | instskip(NEXT) | instid1(VALU_DEP_4)
	v_mul_f64_e32 v[6:7], 0.5, v[8:9]
	v_mul_f64_e32 v[4:5], 0.5, v[10:11]
	s_delay_alu instid0(VALU_DEP_4) | instskip(SKIP_1) | instid1(VALU_DEP_3)
	v_mul_f64_e32 v[2:3], 0.5, v[2:3]
	s_wait_loadcnt 0x0
	v_mul_f64_e32 v[8:9], v[6:7], v[15:16]
	s_delay_alu instid0(VALU_DEP_2) | instskip(SKIP_1) | instid1(VALU_DEP_3)
	v_fma_f64 v[10:11], v[4:5], v[15:16], v[2:3]
	v_fma_f64 v[2:3], v[4:5], v[15:16], -v[2:3]
	v_fma_f64 v[17:18], v[0:1], 0.5, v[8:9]
	v_fma_f64 v[0:1], v[0:1], 0.5, -v[8:9]
	s_delay_alu instid0(VALU_DEP_4) | instskip(NEXT) | instid1(VALU_DEP_4)
	v_fma_f64 v[10:11], -v[13:14], v[6:7], v[10:11]
	v_fma_f64 v[2:3], -v[13:14], v[6:7], v[2:3]
	s_delay_alu instid0(VALU_DEP_4) | instskip(NEXT) | instid1(VALU_DEP_4)
	v_fma_f64 v[8:9], v[4:5], v[13:14], v[17:18]
	v_fma_f64 v[0:1], -v[4:5], v[13:14], v[0:1]
                                        ; implicit-def: $vgpr4_vgpr5
.LBB0_18:
	s_wait_alu 0xfffe
	s_and_not1_saveexec_b32 s0, s1
	s_cbranch_execz .LBB0_20
; %bb.19:
	s_wait_dscnt 0x0
	v_add_f64_e32 v[8:9], v[4:5], v[6:7]
	v_add_f64_e64 v[0:1], v[4:5], -v[6:7]
	ds_load_b64 v[4:5], v70 offset:1768
	v_mov_b32_e32 v10, 0
	v_mov_b32_e32 v11, 0
	s_delay_alu instid0(VALU_DEP_1)
	v_dual_mov_b32 v2, v10 :: v_dual_mov_b32 v3, v11
	s_wait_dscnt 0x0
	v_xor_b32_e32 v5, 0x80000000, v5
	ds_store_b64 v70, v[4:5] offset:1768
.LBB0_20:
	s_wait_alu 0xfffe
	s_or_b32 exec_lo, exec_lo, s0
	v_mov_b32_e32 v55, 0
	s_wait_dscnt 0x0
	s_delay_alu instid0(VALU_DEP_1) | instskip(SKIP_1) | instid1(VALU_DEP_1)
	v_lshlrev_b64_e32 v[4:5], 4, v[54:55]
	v_mov_b32_e32 v61, v55
	v_lshlrev_b64_e32 v[13:14], 4, v[60:61]
	v_mov_b32_e32 v60, v55
	s_delay_alu instid0(VALU_DEP_4) | instskip(SKIP_2) | instid1(VALU_DEP_4)
	v_add_co_u32 v4, s0, s4, v4
	s_wait_alu 0xf1ff
	v_add_co_ci_u32_e64 v5, s0, s5, v5, s0
	v_add_co_u32 v13, s0, s4, v13
	s_wait_alu 0xf1ff
	v_add_co_ci_u32_e64 v14, s0, s5, v14, s0
	s_clause 0x1
	global_load_b128 v[4:7], v[4:5], off offset:3360
	global_load_b128 v[13:16], v[13:14], off offset:3360
	ds_store_2addr_b64 v69, v[8:9], v[10:11] offset1:1
	ds_store_b128 v12, v[0:3] offset:3520
	ds_load_b128 v[0:3], v74
	ds_load_b128 v[8:11], v12 offset:3168
	s_wait_dscnt 0x0
	v_add_f64_e64 v[17:18], v[0:1], -v[8:9]
	v_add_f64_e32 v[19:20], v[2:3], v[10:11]
	v_add_f64_e64 v[2:3], v[2:3], -v[10:11]
	v_add_f64_e32 v[0:1], v[0:1], v[8:9]
	s_delay_alu instid0(VALU_DEP_4) | instskip(NEXT) | instid1(VALU_DEP_4)
	v_mul_f64_e32 v[10:11], 0.5, v[17:18]
	v_mul_f64_e32 v[17:18], 0.5, v[19:20]
	s_delay_alu instid0(VALU_DEP_4) | instskip(SKIP_1) | instid1(VALU_DEP_3)
	v_mul_f64_e32 v[2:3], 0.5, v[2:3]
	s_wait_loadcnt 0x1
	v_mul_f64_e32 v[8:9], v[10:11], v[6:7]
	s_delay_alu instid0(VALU_DEP_2) | instskip(SKIP_1) | instid1(VALU_DEP_3)
	v_fma_f64 v[19:20], v[17:18], v[6:7], v[2:3]
	v_fma_f64 v[2:3], v[17:18], v[6:7], -v[2:3]
	v_fma_f64 v[6:7], v[0:1], 0.5, v[8:9]
	v_fma_f64 v[0:1], v[0:1], 0.5, -v[8:9]
	s_delay_alu instid0(VALU_DEP_4) | instskip(NEXT) | instid1(VALU_DEP_4)
	v_fma_f64 v[8:9], -v[4:5], v[10:11], v[19:20]
	v_fma_f64 v[2:3], -v[4:5], v[10:11], v[2:3]
	s_delay_alu instid0(VALU_DEP_4) | instskip(NEXT) | instid1(VALU_DEP_4)
	v_fma_f64 v[10:11], v[17:18], v[4:5], v[6:7]
	v_fma_f64 v[0:1], -v[17:18], v[4:5], v[0:1]
	v_lshlrev_b64_e32 v[4:5], 4, v[59:60]
	v_mov_b32_e32 v59, v55
	s_delay_alu instid0(VALU_DEP_2) | instskip(SKIP_1) | instid1(VALU_DEP_3)
	v_add_co_u32 v4, s0, s4, v4
	s_wait_alu 0xf1ff
	v_add_co_ci_u32_e64 v5, s0, s5, v5, s0
	global_load_b128 v[4:7], v[4:5], off offset:3360
	ds_store_2addr_b64 v74, v[10:11], v[8:9] offset1:1
	ds_store_b128 v12, v[0:3] offset:3168
	ds_load_b128 v[0:3], v73
	ds_load_b128 v[8:11], v12 offset:2816
	s_wait_dscnt 0x0
	v_add_f64_e64 v[17:18], v[0:1], -v[8:9]
	v_add_f64_e32 v[19:20], v[2:3], v[10:11]
	v_add_f64_e64 v[2:3], v[2:3], -v[10:11]
	v_add_f64_e32 v[0:1], v[0:1], v[8:9]
	s_delay_alu instid0(VALU_DEP_4) | instskip(NEXT) | instid1(VALU_DEP_4)
	v_mul_f64_e32 v[10:11], 0.5, v[17:18]
	v_mul_f64_e32 v[17:18], 0.5, v[19:20]
	s_delay_alu instid0(VALU_DEP_4) | instskip(SKIP_1) | instid1(VALU_DEP_3)
	v_mul_f64_e32 v[2:3], 0.5, v[2:3]
	s_wait_loadcnt 0x1
	v_mul_f64_e32 v[8:9], v[10:11], v[15:16]
	s_delay_alu instid0(VALU_DEP_2) | instskip(SKIP_1) | instid1(VALU_DEP_3)
	v_fma_f64 v[19:20], v[17:18], v[15:16], v[2:3]
	v_fma_f64 v[2:3], v[17:18], v[15:16], -v[2:3]
	v_fma_f64 v[15:16], v[0:1], 0.5, v[8:9]
	v_fma_f64 v[0:1], v[0:1], 0.5, -v[8:9]
	s_delay_alu instid0(VALU_DEP_4) | instskip(NEXT) | instid1(VALU_DEP_4)
	v_fma_f64 v[19:20], -v[13:14], v[10:11], v[19:20]
	v_fma_f64 v[2:3], -v[13:14], v[10:11], v[2:3]
	v_lshlrev_b64_e32 v[8:9], 4, v[58:59]
	s_delay_alu instid0(VALU_DEP_1) | instskip(SKIP_1) | instid1(VALU_DEP_2)
	v_add_co_u32 v8, s0, s4, v8
	s_wait_alu 0xf1ff
	v_add_co_ci_u32_e64 v9, s0, s5, v9, s0
	global_load_b128 v[8:11], v[8:9], off offset:3360
	v_fma_f64 v[15:16], v[17:18], v[13:14], v[15:16]
	v_fma_f64 v[0:1], -v[17:18], v[13:14], v[0:1]
	ds_store_2addr_b64 v73, v[15:16], v[19:20] offset1:1
	ds_store_b128 v12, v[0:3] offset:2816
	ds_load_b128 v[0:3], v72
	ds_load_b128 v[13:16], v12 offset:2464
	s_wait_dscnt 0x0
	v_add_f64_e64 v[17:18], v[0:1], -v[13:14]
	v_add_f64_e32 v[19:20], v[2:3], v[15:16]
	v_add_f64_e64 v[2:3], v[2:3], -v[15:16]
	v_add_f64_e32 v[0:1], v[0:1], v[13:14]
	s_delay_alu instid0(VALU_DEP_4) | instskip(NEXT) | instid1(VALU_DEP_4)
	v_mul_f64_e32 v[15:16], 0.5, v[17:18]
	v_mul_f64_e32 v[17:18], 0.5, v[19:20]
	s_delay_alu instid0(VALU_DEP_4) | instskip(SKIP_1) | instid1(VALU_DEP_3)
	v_mul_f64_e32 v[2:3], 0.5, v[2:3]
	s_wait_loadcnt 0x1
	v_mul_f64_e32 v[13:14], v[15:16], v[6:7]
	s_delay_alu instid0(VALU_DEP_2) | instskip(SKIP_1) | instid1(VALU_DEP_3)
	v_fma_f64 v[19:20], v[17:18], v[6:7], v[2:3]
	v_fma_f64 v[2:3], v[17:18], v[6:7], -v[2:3]
	v_fma_f64 v[6:7], v[0:1], 0.5, v[13:14]
	v_fma_f64 v[0:1], v[0:1], 0.5, -v[13:14]
	s_delay_alu instid0(VALU_DEP_4) | instskip(NEXT) | instid1(VALU_DEP_4)
	v_fma_f64 v[13:14], -v[4:5], v[15:16], v[19:20]
	v_fma_f64 v[2:3], -v[4:5], v[15:16], v[2:3]
	s_delay_alu instid0(VALU_DEP_4) | instskip(NEXT) | instid1(VALU_DEP_4)
	v_fma_f64 v[6:7], v[17:18], v[4:5], v[6:7]
	v_fma_f64 v[0:1], -v[17:18], v[4:5], v[0:1]
	ds_store_2addr_b64 v72, v[6:7], v[13:14] offset1:1
	ds_store_b128 v12, v[0:3] offset:2464
	ds_load_b128 v[0:3], v71
	ds_load_b128 v[4:7], v12 offset:2112
	s_wait_dscnt 0x0
	v_add_f64_e64 v[13:14], v[0:1], -v[4:5]
	v_add_f64_e32 v[15:16], v[2:3], v[6:7]
	v_add_f64_e64 v[2:3], v[2:3], -v[6:7]
	v_add_f64_e32 v[0:1], v[0:1], v[4:5]
	s_delay_alu instid0(VALU_DEP_4) | instskip(NEXT) | instid1(VALU_DEP_4)
	v_mul_f64_e32 v[6:7], 0.5, v[13:14]
	v_mul_f64_e32 v[13:14], 0.5, v[15:16]
	s_delay_alu instid0(VALU_DEP_4) | instskip(SKIP_1) | instid1(VALU_DEP_3)
	v_mul_f64_e32 v[2:3], 0.5, v[2:3]
	s_wait_loadcnt 0x0
	v_mul_f64_e32 v[4:5], v[6:7], v[10:11]
	s_delay_alu instid0(VALU_DEP_2) | instskip(SKIP_1) | instid1(VALU_DEP_3)
	v_fma_f64 v[15:16], v[13:14], v[10:11], v[2:3]
	v_fma_f64 v[2:3], v[13:14], v[10:11], -v[2:3]
	v_fma_f64 v[10:11], v[0:1], 0.5, v[4:5]
	v_fma_f64 v[0:1], v[0:1], 0.5, -v[4:5]
	s_delay_alu instid0(VALU_DEP_4) | instskip(NEXT) | instid1(VALU_DEP_4)
	v_fma_f64 v[4:5], -v[8:9], v[6:7], v[15:16]
	v_fma_f64 v[2:3], -v[8:9], v[6:7], v[2:3]
	s_delay_alu instid0(VALU_DEP_4) | instskip(NEXT) | instid1(VALU_DEP_4)
	v_fma_f64 v[6:7], v[13:14], v[8:9], v[10:11]
	v_fma_f64 v[0:1], -v[13:14], v[8:9], v[0:1]
	ds_store_2addr_b64 v71, v[6:7], v[4:5] offset1:1
	ds_store_b128 v12, v[0:3] offset:2112
	global_wb scope:SCOPE_SE
	s_wait_dscnt 0x0
	s_barrier_signal -1
	s_barrier_wait -1
	global_inv scope:SCOPE_SE
	s_and_saveexec_b32 s0, vcc_lo
	s_cbranch_execz .LBB0_23
; %bb.21:
	ds_load_b128 v[2:5], v69
	ds_load_b128 v[6:9], v69 offset:352
	ds_load_b128 v[10:13], v69 offset:704
	;; [unrolled: 1-line block ×9, first 2 shown]
	v_mov_b32_e32 v53, v55
	v_add_co_u32 v0, vcc_lo, s8, v56
	s_wait_alu 0xfffd
	v_add_co_ci_u32_e32 v1, vcc_lo, s9, v57, vcc_lo
	s_delay_alu instid0(VALU_DEP_3) | instskip(NEXT) | instid1(VALU_DEP_1)
	v_lshlrev_b64_e32 v[42:43], 4, v[52:53]
	v_add_co_u32 v42, vcc_lo, v0, v42
	s_wait_alu 0xfffd
	s_delay_alu instid0(VALU_DEP_2)
	v_add_co_ci_u32_e32 v43, vcc_lo, v1, v43, vcc_lo
	v_cmp_eq_u32_e32 vcc_lo, 21, v52
	s_wait_dscnt 0x9
	global_store_b128 v[42:43], v[2:5], off
	s_wait_dscnt 0x8
	global_store_b128 v[42:43], v[6:9], off offset:352
	s_wait_dscnt 0x7
	global_store_b128 v[42:43], v[10:13], off offset:704
	;; [unrolled: 2-line block ×9, first 2 shown]
	s_and_b32 exec_lo, exec_lo, vcc_lo
	s_cbranch_execz .LBB0_23
; %bb.22:
	ds_load_b128 v[2:5], v69 offset:3184
	s_wait_dscnt 0x0
	global_store_b128 v[0:1], v[2:5], off offset:3520
.LBB0_23:
	s_nop 0
	s_sendmsg sendmsg(MSG_DEALLOC_VGPRS)
	s_endpgm
	.section	.rodata,"a",@progbits
	.p2align	6, 0x0
	.amdhsa_kernel fft_rtc_back_len220_factors_10_2_11_wgs_110_tpt_22_dp_ip_CI_unitstride_sbrr_R2C_dirReg
		.amdhsa_group_segment_fixed_size 0
		.amdhsa_private_segment_fixed_size 0
		.amdhsa_kernarg_size 88
		.amdhsa_user_sgpr_count 2
		.amdhsa_user_sgpr_dispatch_ptr 0
		.amdhsa_user_sgpr_queue_ptr 0
		.amdhsa_user_sgpr_kernarg_segment_ptr 1
		.amdhsa_user_sgpr_dispatch_id 0
		.amdhsa_user_sgpr_private_segment_size 0
		.amdhsa_wavefront_size32 1
		.amdhsa_uses_dynamic_stack 0
		.amdhsa_enable_private_segment 0
		.amdhsa_system_sgpr_workgroup_id_x 1
		.amdhsa_system_sgpr_workgroup_id_y 0
		.amdhsa_system_sgpr_workgroup_id_z 0
		.amdhsa_system_sgpr_workgroup_info 0
		.amdhsa_system_vgpr_workitem_id 0
		.amdhsa_next_free_vgpr 211
		.amdhsa_next_free_sgpr 32
		.amdhsa_reserve_vcc 1
		.amdhsa_float_round_mode_32 0
		.amdhsa_float_round_mode_16_64 0
		.amdhsa_float_denorm_mode_32 3
		.amdhsa_float_denorm_mode_16_64 3
		.amdhsa_fp16_overflow 0
		.amdhsa_workgroup_processor_mode 1
		.amdhsa_memory_ordered 1
		.amdhsa_forward_progress 0
		.amdhsa_round_robin_scheduling 0
		.amdhsa_exception_fp_ieee_invalid_op 0
		.amdhsa_exception_fp_denorm_src 0
		.amdhsa_exception_fp_ieee_div_zero 0
		.amdhsa_exception_fp_ieee_overflow 0
		.amdhsa_exception_fp_ieee_underflow 0
		.amdhsa_exception_fp_ieee_inexact 0
		.amdhsa_exception_int_div_zero 0
	.end_amdhsa_kernel
	.text
.Lfunc_end0:
	.size	fft_rtc_back_len220_factors_10_2_11_wgs_110_tpt_22_dp_ip_CI_unitstride_sbrr_R2C_dirReg, .Lfunc_end0-fft_rtc_back_len220_factors_10_2_11_wgs_110_tpt_22_dp_ip_CI_unitstride_sbrr_R2C_dirReg
                                        ; -- End function
	.section	.AMDGPU.csdata,"",@progbits
; Kernel info:
; codeLenInByte = 8292
; NumSgprs: 34
; NumVgprs: 211
; ScratchSize: 0
; MemoryBound: 0
; FloatMode: 240
; IeeeMode: 1
; LDSByteSize: 0 bytes/workgroup (compile time only)
; SGPRBlocks: 4
; VGPRBlocks: 26
; NumSGPRsForWavesPerEU: 34
; NumVGPRsForWavesPerEU: 211
; Occupancy: 7
; WaveLimiterHint : 1
; COMPUTE_PGM_RSRC2:SCRATCH_EN: 0
; COMPUTE_PGM_RSRC2:USER_SGPR: 2
; COMPUTE_PGM_RSRC2:TRAP_HANDLER: 0
; COMPUTE_PGM_RSRC2:TGID_X_EN: 1
; COMPUTE_PGM_RSRC2:TGID_Y_EN: 0
; COMPUTE_PGM_RSRC2:TGID_Z_EN: 0
; COMPUTE_PGM_RSRC2:TIDIG_COMP_CNT: 0
	.text
	.p2alignl 7, 3214868480
	.fill 96, 4, 3214868480
	.type	__hip_cuid_f843823713977b82,@object ; @__hip_cuid_f843823713977b82
	.section	.bss,"aw",@nobits
	.globl	__hip_cuid_f843823713977b82
__hip_cuid_f843823713977b82:
	.byte	0                               ; 0x0
	.size	__hip_cuid_f843823713977b82, 1

	.ident	"AMD clang version 19.0.0git (https://github.com/RadeonOpenCompute/llvm-project roc-6.4.0 25133 c7fe45cf4b819c5991fe208aaa96edf142730f1d)"
	.section	".note.GNU-stack","",@progbits
	.addrsig
	.addrsig_sym __hip_cuid_f843823713977b82
	.amdgpu_metadata
---
amdhsa.kernels:
  - .args:
      - .actual_access:  read_only
        .address_space:  global
        .offset:         0
        .size:           8
        .value_kind:     global_buffer
      - .offset:         8
        .size:           8
        .value_kind:     by_value
      - .actual_access:  read_only
        .address_space:  global
        .offset:         16
        .size:           8
        .value_kind:     global_buffer
      - .actual_access:  read_only
        .address_space:  global
        .offset:         24
        .size:           8
        .value_kind:     global_buffer
      - .offset:         32
        .size:           8
        .value_kind:     by_value
      - .actual_access:  read_only
        .address_space:  global
        .offset:         40
        .size:           8
        .value_kind:     global_buffer
      - .actual_access:  read_only
        .address_space:  global
        .offset:         48
        .size:           8
        .value_kind:     global_buffer
      - .offset:         56
        .size:           4
        .value_kind:     by_value
      - .actual_access:  read_only
        .address_space:  global
        .offset:         64
        .size:           8
        .value_kind:     global_buffer
      - .actual_access:  read_only
        .address_space:  global
        .offset:         72
        .size:           8
        .value_kind:     global_buffer
      - .address_space:  global
        .offset:         80
        .size:           8
        .value_kind:     global_buffer
    .group_segment_fixed_size: 0
    .kernarg_segment_align: 8
    .kernarg_segment_size: 88
    .language:       OpenCL C
    .language_version:
      - 2
      - 0
    .max_flat_workgroup_size: 110
    .name:           fft_rtc_back_len220_factors_10_2_11_wgs_110_tpt_22_dp_ip_CI_unitstride_sbrr_R2C_dirReg
    .private_segment_fixed_size: 0
    .sgpr_count:     34
    .sgpr_spill_count: 0
    .symbol:         fft_rtc_back_len220_factors_10_2_11_wgs_110_tpt_22_dp_ip_CI_unitstride_sbrr_R2C_dirReg.kd
    .uniform_work_group_size: 1
    .uses_dynamic_stack: false
    .vgpr_count:     211
    .vgpr_spill_count: 0
    .wavefront_size: 32
    .workgroup_processor_mode: 1
amdhsa.target:   amdgcn-amd-amdhsa--gfx1201
amdhsa.version:
  - 1
  - 2
...

	.end_amdgpu_metadata
